;; amdgpu-corpus repo=ROCm/rocFFT kind=compiled arch=gfx906 opt=O3
	.text
	.amdgcn_target "amdgcn-amd-amdhsa--gfx906"
	.amdhsa_code_object_version 6
	.protected	fft_rtc_fwd_len1040_factors_13_16_5_wgs_208_tpt_208_halfLds_sp_ip_CI_sbrr_dirReg ; -- Begin function fft_rtc_fwd_len1040_factors_13_16_5_wgs_208_tpt_208_halfLds_sp_ip_CI_sbrr_dirReg
	.globl	fft_rtc_fwd_len1040_factors_13_16_5_wgs_208_tpt_208_halfLds_sp_ip_CI_sbrr_dirReg
	.p2align	8
	.type	fft_rtc_fwd_len1040_factors_13_16_5_wgs_208_tpt_208_halfLds_sp_ip_CI_sbrr_dirReg,@function
fft_rtc_fwd_len1040_factors_13_16_5_wgs_208_tpt_208_halfLds_sp_ip_CI_sbrr_dirReg: ; @fft_rtc_fwd_len1040_factors_13_16_5_wgs_208_tpt_208_halfLds_sp_ip_CI_sbrr_dirReg
; %bb.0:
	s_load_dwordx2 s[2:3], s[4:5], 0x18
	s_load_dwordx4 s[8:11], s[4:5], 0x0
	s_load_dwordx2 s[14:15], s[4:5], 0x50
	v_mul_u32_u24_e32 v1, 0x13c, v0
	v_add_u32_sdwa v5, s6, v1 dst_sel:DWORD dst_unused:UNUSED_PAD src0_sel:DWORD src1_sel:WORD_1
	s_waitcnt lgkmcnt(0)
	s_load_dwordx2 s[12:13], s[2:3], 0x0
	v_cmp_lt_u64_e64 s[0:1], s[10:11], 2
	v_mov_b32_e32 v3, 0
	v_mov_b32_e32 v1, 0
	;; [unrolled: 1-line block ×3, first 2 shown]
	s_and_b64 vcc, exec, s[0:1]
	v_mov_b32_e32 v2, 0
	s_cbranch_vccnz .LBB0_8
; %bb.1:
	s_load_dwordx2 s[0:1], s[4:5], 0x10
	s_add_u32 s6, s2, 8
	s_addc_u32 s7, s3, 0
	v_mov_b32_e32 v1, 0
	v_mov_b32_e32 v2, 0
	s_waitcnt lgkmcnt(0)
	s_add_u32 s16, s0, 8
	s_addc_u32 s17, s1, 0
	s_mov_b64 s[18:19], 1
.LBB0_2:                                ; =>This Inner Loop Header: Depth=1
	s_load_dwordx2 s[20:21], s[16:17], 0x0
                                        ; implicit-def: $vgpr7_vgpr8
	s_waitcnt lgkmcnt(0)
	v_or_b32_e32 v4, s21, v6
	v_cmp_ne_u64_e32 vcc, 0, v[3:4]
	s_and_saveexec_b64 s[0:1], vcc
	s_xor_b64 s[22:23], exec, s[0:1]
	s_cbranch_execz .LBB0_4
; %bb.3:                                ;   in Loop: Header=BB0_2 Depth=1
	v_cvt_f32_u32_e32 v4, s20
	v_cvt_f32_u32_e32 v7, s21
	s_sub_u32 s0, 0, s20
	s_subb_u32 s1, 0, s21
	v_mac_f32_e32 v4, 0x4f800000, v7
	v_rcp_f32_e32 v4, v4
	v_mul_f32_e32 v4, 0x5f7ffffc, v4
	v_mul_f32_e32 v7, 0x2f800000, v4
	v_trunc_f32_e32 v7, v7
	v_mac_f32_e32 v4, 0xcf800000, v7
	v_cvt_u32_f32_e32 v7, v7
	v_cvt_u32_f32_e32 v4, v4
	v_mul_lo_u32 v8, s0, v7
	v_mul_hi_u32 v9, s0, v4
	v_mul_lo_u32 v11, s1, v4
	v_mul_lo_u32 v10, s0, v4
	v_add_u32_e32 v8, v9, v8
	v_add_u32_e32 v8, v8, v11
	v_mul_hi_u32 v9, v4, v10
	v_mul_lo_u32 v11, v4, v8
	v_mul_hi_u32 v13, v4, v8
	v_mul_hi_u32 v12, v7, v10
	v_mul_lo_u32 v10, v7, v10
	v_mul_hi_u32 v14, v7, v8
	v_add_co_u32_e32 v9, vcc, v9, v11
	v_addc_co_u32_e32 v11, vcc, 0, v13, vcc
	v_mul_lo_u32 v8, v7, v8
	v_add_co_u32_e32 v9, vcc, v9, v10
	v_addc_co_u32_e32 v9, vcc, v11, v12, vcc
	v_addc_co_u32_e32 v10, vcc, 0, v14, vcc
	v_add_co_u32_e32 v8, vcc, v9, v8
	v_addc_co_u32_e32 v9, vcc, 0, v10, vcc
	v_add_co_u32_e32 v4, vcc, v4, v8
	v_addc_co_u32_e32 v7, vcc, v7, v9, vcc
	v_mul_lo_u32 v8, s0, v7
	v_mul_hi_u32 v9, s0, v4
	v_mul_lo_u32 v10, s1, v4
	v_mul_lo_u32 v11, s0, v4
	v_add_u32_e32 v8, v9, v8
	v_add_u32_e32 v8, v8, v10
	v_mul_lo_u32 v12, v4, v8
	v_mul_hi_u32 v13, v4, v11
	v_mul_hi_u32 v14, v4, v8
	;; [unrolled: 1-line block ×3, first 2 shown]
	v_mul_lo_u32 v11, v7, v11
	v_mul_hi_u32 v9, v7, v8
	v_add_co_u32_e32 v12, vcc, v13, v12
	v_addc_co_u32_e32 v13, vcc, 0, v14, vcc
	v_mul_lo_u32 v8, v7, v8
	v_add_co_u32_e32 v11, vcc, v12, v11
	v_addc_co_u32_e32 v10, vcc, v13, v10, vcc
	v_addc_co_u32_e32 v9, vcc, 0, v9, vcc
	v_add_co_u32_e32 v8, vcc, v10, v8
	v_addc_co_u32_e32 v9, vcc, 0, v9, vcc
	v_add_co_u32_e32 v4, vcc, v4, v8
	v_addc_co_u32_e32 v9, vcc, v7, v9, vcc
	v_mad_u64_u32 v[7:8], s[0:1], v5, v9, 0
	v_mul_hi_u32 v10, v5, v4
	v_add_co_u32_e32 v11, vcc, v10, v7
	v_addc_co_u32_e32 v12, vcc, 0, v8, vcc
	v_mad_u64_u32 v[7:8], s[0:1], v6, v4, 0
	v_mad_u64_u32 v[9:10], s[0:1], v6, v9, 0
	v_add_co_u32_e32 v4, vcc, v11, v7
	v_addc_co_u32_e32 v4, vcc, v12, v8, vcc
	v_addc_co_u32_e32 v7, vcc, 0, v10, vcc
	v_add_co_u32_e32 v4, vcc, v4, v9
	v_addc_co_u32_e32 v9, vcc, 0, v7, vcc
	v_mul_lo_u32 v10, s21, v4
	v_mul_lo_u32 v11, s20, v9
	v_mad_u64_u32 v[7:8], s[0:1], s20, v4, 0
	v_add3_u32 v8, v8, v11, v10
	v_sub_u32_e32 v10, v6, v8
	v_mov_b32_e32 v11, s21
	v_sub_co_u32_e32 v7, vcc, v5, v7
	v_subb_co_u32_e64 v10, s[0:1], v10, v11, vcc
	v_subrev_co_u32_e64 v11, s[0:1], s20, v7
	v_subbrev_co_u32_e64 v10, s[0:1], 0, v10, s[0:1]
	v_cmp_le_u32_e64 s[0:1], s21, v10
	v_cndmask_b32_e64 v12, 0, -1, s[0:1]
	v_cmp_le_u32_e64 s[0:1], s20, v11
	v_cndmask_b32_e64 v11, 0, -1, s[0:1]
	v_cmp_eq_u32_e64 s[0:1], s21, v10
	v_cndmask_b32_e64 v10, v12, v11, s[0:1]
	v_add_co_u32_e64 v11, s[0:1], 2, v4
	v_addc_co_u32_e64 v12, s[0:1], 0, v9, s[0:1]
	v_add_co_u32_e64 v13, s[0:1], 1, v4
	v_addc_co_u32_e64 v14, s[0:1], 0, v9, s[0:1]
	v_subb_co_u32_e32 v8, vcc, v6, v8, vcc
	v_cmp_ne_u32_e64 s[0:1], 0, v10
	v_cmp_le_u32_e32 vcc, s21, v8
	v_cndmask_b32_e64 v10, v14, v12, s[0:1]
	v_cndmask_b32_e64 v12, 0, -1, vcc
	v_cmp_le_u32_e32 vcc, s20, v7
	v_cndmask_b32_e64 v7, 0, -1, vcc
	v_cmp_eq_u32_e32 vcc, s21, v8
	v_cndmask_b32_e32 v7, v12, v7, vcc
	v_cmp_ne_u32_e32 vcc, 0, v7
	v_cndmask_b32_e64 v7, v13, v11, s[0:1]
	v_cndmask_b32_e32 v8, v9, v10, vcc
	v_cndmask_b32_e32 v7, v4, v7, vcc
.LBB0_4:                                ;   in Loop: Header=BB0_2 Depth=1
	s_andn2_saveexec_b64 s[0:1], s[22:23]
	s_cbranch_execz .LBB0_6
; %bb.5:                                ;   in Loop: Header=BB0_2 Depth=1
	v_cvt_f32_u32_e32 v4, s20
	s_sub_i32 s22, 0, s20
	v_rcp_iflag_f32_e32 v4, v4
	v_mul_f32_e32 v4, 0x4f7ffffe, v4
	v_cvt_u32_f32_e32 v4, v4
	v_mul_lo_u32 v7, s22, v4
	v_mul_hi_u32 v7, v4, v7
	v_add_u32_e32 v4, v4, v7
	v_mul_hi_u32 v4, v5, v4
	v_mul_lo_u32 v7, v4, s20
	v_add_u32_e32 v8, 1, v4
	v_sub_u32_e32 v7, v5, v7
	v_subrev_u32_e32 v9, s20, v7
	v_cmp_le_u32_e32 vcc, s20, v7
	v_cndmask_b32_e32 v7, v7, v9, vcc
	v_cndmask_b32_e32 v4, v4, v8, vcc
	v_add_u32_e32 v8, 1, v4
	v_cmp_le_u32_e32 vcc, s20, v7
	v_cndmask_b32_e32 v7, v4, v8, vcc
	v_mov_b32_e32 v8, v3
.LBB0_6:                                ;   in Loop: Header=BB0_2 Depth=1
	s_or_b64 exec, exec, s[0:1]
	v_mul_lo_u32 v4, v8, s20
	v_mul_lo_u32 v11, v7, s21
	v_mad_u64_u32 v[9:10], s[0:1], v7, s20, 0
	s_load_dwordx2 s[0:1], s[6:7], 0x0
	s_add_u32 s18, s18, 1
	v_add3_u32 v4, v10, v11, v4
	v_sub_co_u32_e32 v5, vcc, v5, v9
	v_subb_co_u32_e32 v4, vcc, v6, v4, vcc
	s_waitcnt lgkmcnt(0)
	v_mul_lo_u32 v4, s0, v4
	v_mul_lo_u32 v6, s1, v5
	v_mad_u64_u32 v[1:2], s[0:1], s0, v5, v[1:2]
	s_addc_u32 s19, s19, 0
	s_add_u32 s6, s6, 8
	v_add3_u32 v2, v6, v2, v4
	v_mov_b32_e32 v4, s10
	v_mov_b32_e32 v5, s11
	s_addc_u32 s7, s7, 0
	v_cmp_ge_u64_e32 vcc, s[18:19], v[4:5]
	s_add_u32 s16, s16, 8
	s_addc_u32 s17, s17, 0
	s_cbranch_vccnz .LBB0_9
; %bb.7:                                ;   in Loop: Header=BB0_2 Depth=1
	v_mov_b32_e32 v5, v7
	v_mov_b32_e32 v6, v8
	s_branch .LBB0_2
.LBB0_8:
	v_mov_b32_e32 v8, v6
	v_mov_b32_e32 v7, v5
.LBB0_9:
	s_lshl_b64 s[0:1], s[10:11], 3
	s_add_u32 s0, s2, s0
	s_addc_u32 s1, s3, s1
	s_load_dwordx2 s[2:3], s[0:1], 0x0
	s_load_dwordx2 s[6:7], s[4:5], 0x20
	v_mov_b32_e32 v21, 0
	v_mov_b32_e32 v45, 0
	;; [unrolled: 1-line block ×3, first 2 shown]
	s_waitcnt lgkmcnt(0)
	v_mad_u64_u32 v[4:5], s[0:1], s2, v7, v[1:2]
	s_mov_b32 s0, 0x13b13b2
	v_mul_hi_u32 v1, v0, s0
	v_mul_lo_u32 v3, s2, v8
	v_mul_lo_u32 v6, s3, v7
	v_cmp_gt_u64_e32 vcc, s[6:7], v[7:8]
	v_mul_u32_u24_e32 v1, 0xd0, v1
	v_sub_u32_e32 v44, v0, v1
	v_add3_u32 v5, v6, v5, v3
                                        ; implicit-def: $vgpr27
                                        ; implicit-def: $vgpr23
                                        ; implicit-def: $vgpr19
                                        ; implicit-def: $vgpr13
                                        ; implicit-def: $vgpr7
                                        ; implicit-def: $vgpr1
                                        ; implicit-def: $vgpr3
                                        ; implicit-def: $vgpr9
                                        ; implicit-def: $vgpr11
                                        ; implicit-def: $vgpr17
                                        ; implicit-def: $vgpr25
                                        ; implicit-def: $vgpr29
	s_and_saveexec_b64 s[2:3], vcc
	s_cbranch_execz .LBB0_13
; %bb.10:
	s_movk_i32 s0, 0x50
	v_cmp_gt_u32_e64 s[0:1], s0, v44
	v_mov_b32_e32 v20, 0
	v_mov_b32_e32 v21, 0
                                        ; implicit-def: $vgpr28
                                        ; implicit-def: $vgpr24
                                        ; implicit-def: $vgpr16
                                        ; implicit-def: $vgpr10
                                        ; implicit-def: $vgpr8
                                        ; implicit-def: $vgpr2
                                        ; implicit-def: $vgpr0
                                        ; implicit-def: $vgpr6
                                        ; implicit-def: $vgpr12
                                        ; implicit-def: $vgpr18
                                        ; implicit-def: $vgpr22
                                        ; implicit-def: $vgpr26
	s_and_saveexec_b64 s[4:5], s[0:1]
	s_cbranch_execz .LBB0_12
; %bb.11:
	v_mad_u64_u32 v[0:1], s[0:1], s12, v44, 0
	v_add_u32_e32 v9, 0x50, v44
	v_mad_u64_u32 v[6:7], s[0:1], s12, v9, 0
	v_mad_u64_u32 v[1:2], s[0:1], s13, v44, v[1:2]
	v_lshlrev_b64 v[2:3], 3, v[4:5]
	v_mov_b32_e32 v8, s15
	v_add_co_u32_e64 v10, s[0:1], s14, v2
	v_mov_b32_e32 v2, v7
	v_addc_co_u32_e64 v11, s[0:1], v8, v3, s[0:1]
	v_mad_u64_u32 v[2:3], s[0:1], s13, v9, v[2:3]
	v_add_u32_e32 v3, 0xa0, v44
	v_mad_u64_u32 v[8:9], s[0:1], s12, v3, 0
	v_lshlrev_b64 v[0:1], 3, v[0:1]
	v_mov_b32_e32 v7, v2
	v_add_co_u32_e64 v14, s[0:1], v10, v0
	v_mov_b32_e32 v2, v9
	v_addc_co_u32_e64 v15, s[0:1], v11, v1, s[0:1]
	v_mad_u64_u32 v[2:3], s[0:1], s13, v3, v[2:3]
	v_add_u32_e32 v3, 0xf0, v44
	v_lshlrev_b64 v[0:1], 3, v[6:7]
	v_mad_u64_u32 v[6:7], s[0:1], s12, v3, 0
	v_add_co_u32_e64 v30, s[0:1], v10, v0
	v_mov_b32_e32 v9, v2
	v_mov_b32_e32 v2, v7
	v_addc_co_u32_e64 v31, s[0:1], v11, v1, s[0:1]
	v_mad_u64_u32 v[2:3], s[0:1], s13, v3, v[2:3]
	v_add_u32_e32 v3, 0x140, v44
	v_lshlrev_b64 v[0:1], 3, v[8:9]
	v_mad_u64_u32 v[8:9], s[0:1], s12, v3, 0
	v_add_co_u32_e64 v32, s[0:1], v10, v0
	v_mov_b32_e32 v7, v2
	;; [unrolled: 8-line block ×5, first 2 shown]
	v_mov_b32_e32 v2, v7
	v_addc_co_u32_e64 v39, s[0:1], v11, v1, s[0:1]
	v_mad_u64_u32 v[2:3], s[0:1], s13, v3, v[2:3]
	v_or_b32_e32 v3, 0x280, v44
	v_lshlrev_b64 v[0:1], 3, v[8:9]
	v_mad_u64_u32 v[8:9], s[0:1], s12, v3, 0
	v_add_co_u32_e64 v40, s[0:1], v10, v0
	v_mov_b32_e32 v7, v2
	v_mov_b32_e32 v2, v9
	v_addc_co_u32_e64 v41, s[0:1], v11, v1, s[0:1]
	v_mad_u64_u32 v[2:3], s[0:1], s13, v3, v[2:3]
	v_add_u32_e32 v3, 0x2d0, v44
	v_lshlrev_b64 v[0:1], 3, v[6:7]
	v_mad_u64_u32 v[6:7], s[0:1], s12, v3, 0
	v_add_co_u32_e64 v42, s[0:1], v10, v0
	v_mov_b32_e32 v9, v2
	v_mov_b32_e32 v2, v7
	v_addc_co_u32_e64 v43, s[0:1], v11, v1, s[0:1]
	v_mad_u64_u32 v[2:3], s[0:1], s13, v3, v[2:3]
	v_add_u32_e32 v3, 0x320, v44
	;; [unrolled: 8-line block ×4, first 2 shown]
	v_lshlrev_b64 v[0:1], 3, v[8:9]
	v_mad_u64_u32 v[8:9], s[0:1], s12, v3, 0
	v_add_co_u32_e64 v49, s[0:1], v10, v0
	v_mov_b32_e32 v7, v2
	v_mov_b32_e32 v2, v9
	v_addc_co_u32_e64 v50, s[0:1], v11, v1, s[0:1]
	v_mad_u64_u32 v[2:3], s[0:1], s13, v3, v[2:3]
	v_lshlrev_b64 v[0:1], 3, v[6:7]
	v_add_co_u32_e64 v51, s[0:1], v10, v0
	v_mov_b32_e32 v9, v2
	v_addc_co_u32_e64 v52, s[0:1], v11, v1, s[0:1]
	v_lshlrev_b64 v[0:1], 3, v[8:9]
	v_add_co_u32_e64 v53, s[0:1], v10, v0
	v_addc_co_u32_e64 v54, s[0:1], v11, v1, s[0:1]
	global_load_dwordx2 v[20:21], v[14:15], off
	global_load_dwordx2 v[26:27], v[30:31], off
	;; [unrolled: 1-line block ×13, first 2 shown]
.LBB0_12:
	s_or_b64 exec, exec, s[4:5]
	v_mov_b32_e32 v45, v44
.LBB0_13:
	s_or_b64 exec, exec, s[2:3]
	s_waitcnt vmcnt(0)
	v_add_f32_e32 v30, v26, v28
	v_mul_f32_e32 v14, 0x3f116cb1, v30
	v_add_f32_e32 v31, v22, v24
	v_sub_f32_e32 v40, v27, v29
	v_mov_b32_e32 v15, v14
	v_mul_f32_e32 v34, 0xbeb58ec6, v31
	v_fmac_f32_e32 v15, 0x3f52af12, v40
	v_sub_f32_e32 v41, v23, v25
	v_mov_b32_e32 v32, v34
	v_add_f32_e32 v15, v20, v15
	v_fmac_f32_e32 v32, 0x3f6f5d39, v41
	v_mul_f32_e32 v35, 0x3df6dbef, v30
	v_add_f32_e32 v15, v32, v15
	v_mov_b32_e32 v32, v35
	v_mul_f32_e32 v36, 0xbf788fa5, v31
	v_fmac_f32_e32 v32, 0x3f7e222b, v40
	v_mov_b32_e32 v33, v36
	v_add_f32_e32 v42, v18, v16
	v_add_f32_e32 v32, v20, v32
	v_fmac_f32_e32 v33, 0x3e750f2a, v41
	v_mul_f32_e32 v37, 0xbf788fa5, v42
	v_add_f32_e32 v32, v33, v32
	v_sub_f32_e32 v43, v19, v17
	v_mov_b32_e32 v33, v37
	v_fmac_f32_e32 v33, 0x3e750f2a, v43
	v_mul_f32_e32 v38, 0xbeb58ec6, v42
	v_add_f32_e32 v15, v33, v15
	v_mov_b32_e32 v33, v38
	v_add_f32_e32 v46, v12, v10
	v_fmac_f32_e32 v33, 0xbf6f5d39, v43
	v_mul_f32_e32 v39, 0xbf3f9e67, v46
	v_add_f32_e32 v32, v33, v32
	v_sub_f32_e32 v47, v13, v11
	v_mov_b32_e32 v33, v39
	v_fmac_f32_e32 v33, 0xbf29c268, v47
	v_mul_f32_e32 v48, 0x3f62ad3f, v46
	v_add_f32_e32 v15, v33, v15
	v_mov_b32_e32 v33, v48
	v_add_f32_e32 v49, v6, v8
	v_fmac_f32_e32 v33, 0xbeedf032, v47
	v_mul_f32_e32 v51, 0x3df6dbef, v49
	v_add_f32_e32 v32, v33, v32
	v_sub_f32_e32 v50, v7, v9
	v_mov_b32_e32 v33, v51
	v_fmac_f32_e32 v33, 0xbf7e222b, v50
	v_mul_f32_e32 v52, 0x3f116cb1, v49
	v_fmac_f32_e32 v14, 0xbf52af12, v40
	v_add_f32_e32 v15, v33, v15
	v_mov_b32_e32 v33, v52
	v_add_f32_e32 v53, v0, v2
	v_add_f32_e32 v14, v20, v14
	v_fmac_f32_e32 v34, 0xbf6f5d39, v41
	v_fmac_f32_e32 v35, 0xbf7e222b, v40
	;; [unrolled: 1-line block ×3, first 2 shown]
	v_mul_f32_e32 v55, 0x3f62ad3f, v53
	v_add_f32_e32 v14, v34, v14
	v_add_f32_e32 v34, v20, v35
	v_fmac_f32_e32 v36, 0xbe750f2a, v41
	v_fmac_f32_e32 v37, 0xbe750f2a, v43
	v_add_f32_e32 v33, v33, v32
	v_sub_f32_e32 v54, v1, v3
	v_mov_b32_e32 v32, v55
	v_add_f32_e32 v34, v36, v34
	v_add_f32_e32 v14, v37, v14
	v_fmac_f32_e32 v38, 0x3f6f5d39, v43
	v_fmac_f32_e32 v39, 0x3f29c268, v47
	;; [unrolled: 1-line block ×3, first 2 shown]
	v_add_f32_e32 v34, v38, v34
	v_add_f32_e32 v14, v39, v14
	v_fmac_f32_e32 v48, 0x3eedf032, v47
	v_fmac_f32_e32 v51, 0x3f7e222b, v50
	v_add_f32_e32 v32, v32, v15
	v_mul_f32_e32 v15, 0xbf3f9e67, v53
	v_add_f32_e32 v34, v48, v34
	v_add_f32_e32 v14, v51, v14
	v_fmac_f32_e32 v52, 0xbf52af12, v50
	v_fmac_f32_e32 v55, 0x3eedf032, v54
	v_mov_b32_e32 v56, v15
	v_add_f32_e32 v34, v52, v34
	v_add_f32_e32 v35, v55, v14
	v_fmac_f32_e32 v15, 0xbf29c268, v54
	v_mul_f32_e32 v14, 0xbeb58ec6, v30
	v_add_f32_e32 v34, v15, v34
	v_mov_b32_e32 v15, v14
	v_mul_f32_e32 v38, 0xbf3f9e67, v31
	v_fmac_f32_e32 v15, 0x3f6f5d39, v40
	v_mov_b32_e32 v36, v38
	v_add_f32_e32 v15, v20, v15
	v_fmac_f32_e32 v36, 0xbf29c268, v41
	v_mul_f32_e32 v39, 0xbf3f9e67, v30
	v_add_f32_e32 v15, v36, v15
	v_mov_b32_e32 v36, v39
	v_mul_f32_e32 v48, 0x3df6dbef, v31
	v_fmac_f32_e32 v36, 0x3f29c268, v40
	v_mov_b32_e32 v37, v48
	v_add_f32_e32 v36, v20, v36
	v_fmac_f32_e32 v37, 0xbf7e222b, v41
	v_mul_f32_e32 v51, 0x3f62ad3f, v42
	v_add_f32_e32 v36, v37, v36
	v_mov_b32_e32 v37, v51
	v_fmac_f32_e32 v37, 0xbeedf032, v43
	v_mul_f32_e32 v52, 0x3f116cb1, v42
	v_add_f32_e32 v15, v37, v15
	v_mov_b32_e32 v37, v52
	v_fmac_f32_e32 v37, 0x3f52af12, v43
	v_mul_f32_e32 v55, 0x3df6dbef, v46
	v_fmac_f32_e32 v56, 0x3f29c268, v54
	v_add_f32_e32 v36, v37, v36
	v_mov_b32_e32 v37, v55
	v_add_f32_e32 v33, v56, v33
	v_fmac_f32_e32 v37, 0x3f7e222b, v47
	v_mul_f32_e32 v56, 0xbf788fa5, v46
	v_add_f32_e32 v15, v37, v15
	v_mov_b32_e32 v37, v56
	v_fmac_f32_e32 v37, 0xbe750f2a, v47
	v_mul_f32_e32 v57, 0xbf788fa5, v49
	v_add_f32_e32 v36, v37, v36
	v_mov_b32_e32 v37, v57
	;; [unrolled: 4-line block ×5, first 2 shown]
	v_fmac_f32_e32 v15, 0x3f6f5d39, v54
	v_fmac_f32_e32 v14, 0xbf6f5d39, v40
	;; [unrolled: 1-line block ×3, first 2 shown]
	v_add_f32_e32 v37, v15, v37
	v_add_f32_e32 v14, v20, v14
	v_fmac_f32_e32 v38, 0x3f29c268, v41
	v_add_f32_e32 v15, v20, v39
	v_fmac_f32_e32 v48, 0x3f7e222b, v41
	v_add_f32_e32 v14, v38, v14
	v_add_f32_e32 v15, v48, v15
	v_fmac_f32_e32 v51, 0x3eedf032, v43
	v_fmac_f32_e32 v52, 0xbf52af12, v43
	v_add_f32_e32 v14, v51, v14
	v_add_f32_e32 v15, v52, v15
	v_fmac_f32_e32 v55, 0xbf7e222b, v47
	;; [unrolled: 4-line block ×4, first 2 shown]
	v_fmac_f32_e32 v60, 0xbf6f5d39, v54
	v_add_f32_e32 v15, v59, v14
	v_add_f32_e32 v14, v60, v38
	v_mul_f32_e32 v38, 0xbf788fa5, v30
	v_mov_b32_e32 v39, v38
	v_mul_f32_e32 v48, 0x3f62ad3f, v31
	v_fmac_f32_e32 v38, 0xbe750f2a, v40
	v_fmac_f32_e32 v39, 0x3e750f2a, v40
	v_mov_b32_e32 v51, v48
	v_add_f32_e32 v38, v20, v38
	v_fmac_f32_e32 v48, 0x3eedf032, v41
	v_add_f32_e32 v39, v20, v39
	v_fmac_f32_e32 v51, 0xbeedf032, v41
	v_add_f32_e32 v38, v48, v38
	v_mul_f32_e32 v48, 0xbf3f9e67, v42
	v_add_f32_e32 v39, v51, v39
	v_mov_b32_e32 v51, v48
	v_fmac_f32_e32 v48, 0xbf29c268, v43
	v_fmac_f32_e32 v51, 0x3f29c268, v43
	v_add_f32_e32 v38, v48, v38
	v_mul_f32_e32 v48, 0x3f116cb1, v46
	v_add_f32_e32 v39, v51, v39
	v_mov_b32_e32 v51, v48
	v_fmac_f32_e32 v48, 0x3f52af12, v47
	;; [unrolled: 6-line block ×3, first 2 shown]
	v_add_f32_e32 v39, v51, v39
	v_fmac_f32_e32 v48, 0xbf6f5d39, v50
	v_mul_f32_e32 v51, 0x3df6dbef, v53
	v_add_f32_e32 v48, v48, v38
	v_mov_b32_e32 v38, v51
	v_fmac_f32_e32 v38, 0xbf7e222b, v54
	v_fmac_f32_e32 v51, 0x3f7e222b, v54
	v_add_f32_e32 v38, v38, v39
	v_add_f32_e32 v39, v51, v48
	v_mul_f32_e32 v48, 0x3f62ad3f, v30
	v_mov_b32_e32 v30, v48
	v_mul_f32_e32 v51, 0x3f116cb1, v31
	v_fmac_f32_e32 v30, 0x3eedf032, v40
	v_mov_b32_e32 v31, v51
	v_add_f32_e32 v30, v20, v30
	v_fmac_f32_e32 v31, 0x3f52af12, v41
	v_mul_f32_e32 v42, 0x3df6dbef, v42
	v_add_f32_e32 v30, v31, v30
	v_mov_b32_e32 v31, v42
	v_fmac_f32_e32 v31, 0x3f7e222b, v43
	v_mul_f32_e32 v46, 0xbeb58ec6, v46
	v_add_f32_e32 v30, v31, v30
	v_mov_b32_e32 v31, v46
	;; [unrolled: 4-line block ×3, first 2 shown]
	v_fmac_f32_e32 v31, 0x3f29c268, v50
	v_add_f32_e32 v30, v31, v30
	v_add_f32_e32 v31, v20, v26
	;; [unrolled: 1-line block ×8, first 2 shown]
	v_fmac_f32_e32 v48, 0xbeedf032, v40
	v_add_f32_e32 v31, v31, v8
	v_fmac_f32_e32 v51, 0xbf52af12, v41
	v_add_f32_e32 v20, v20, v48
	v_add_f32_e32 v31, v31, v10
	;; [unrolled: 1-line block ×3, first 2 shown]
	v_fmac_f32_e32 v42, 0xbf7e222b, v43
	v_add_f32_e32 v31, v31, v16
	v_mul_f32_e32 v53, 0xbf788fa5, v53
	v_add_f32_e32 v20, v42, v20
	v_fmac_f32_e32 v46, 0xbf6f5d39, v47
	v_add_f32_e32 v52, v31, v24
	v_mov_b32_e32 v31, v53
	v_add_f32_e32 v20, v46, v20
	v_fmac_f32_e32 v49, 0xbf29c268, v50
	v_fmac_f32_e32 v31, 0x3e750f2a, v54
	v_add_f32_e32 v20, v49, v20
	v_fmac_f32_e32 v53, 0xbe750f2a, v54
	s_movk_i32 s0, 0x50
	v_add_f32_e32 v31, v31, v30
	v_add_f32_e32 v30, v52, v28
	;; [unrolled: 1-line block ×3, first 2 shown]
	v_cmp_gt_u32_e64 s[2:3], s0, v44
	v_mad_u32_u24 v47, v44, 52, 0
	s_and_saveexec_b64 s[0:1], s[2:3]
	s_cbranch_execz .LBB0_15
; %bb.14:
	ds_write2_b32 v47, v30, v31 offset1:1
	ds_write2_b32 v47, v32, v33 offset0:2 offset1:3
	ds_write2_b32 v47, v36, v37 offset0:4 offset1:5
	;; [unrolled: 1-line block ×5, first 2 shown]
	ds_write_b32 v47, v40 offset:48
.LBB0_15:
	s_or_b64 exec, exec, s[0:1]
	s_movk_i32 s0, 0x41
	v_cmp_gt_u32_e64 s[0:1], s0, v44
	v_lshl_add_u32 v46, v44, 2, 0
	s_waitcnt lgkmcnt(0)
	s_barrier
	s_waitcnt lgkmcnt(0)
                                        ; implicit-def: $vgpr42
	s_and_saveexec_b64 s[4:5], s[0:1]
	s_cbranch_execz .LBB0_17
; %bb.16:
	v_add_u32_e32 v14, 0x400, v46
	v_add_u32_e32 v20, 0x800, v46
	ds_read2_b32 v[30:31], v46 offset1:65
	ds_read2_b32 v[32:33], v46 offset0:130 offset1:195
	ds_read2_b32 v[36:37], v14 offset0:4 offset1:69
	;; [unrolled: 1-line block ×5, first 2 shown]
	v_add_u32_e32 v20, 0xc00, v46
	ds_read2_b32 v[40:41], v20 offset0:12 offset1:77
	ds_read2_b32 v[42:43], v20 offset0:142 offset1:207
.LBB0_17:
	s_or_b64 exec, exec, s[4:5]
	v_add_f32_e32 v20, v21, v27
	v_add_f32_e32 v20, v20, v23
	;; [unrolled: 1-line block ×10, first 2 shown]
	v_sub_f32_e32 v26, v26, v28
	v_add_f32_e32 v20, v20, v25
	v_mul_f32_e32 v28, 0xbeedf032, v26
	v_mul_f32_e32 v48, 0xbf52af12, v26
	;; [unrolled: 1-line block ×6, first 2 shown]
	v_add_f32_e32 v20, v20, v29
	v_add_f32_e32 v27, v27, v29
	s_mov_b32 s6, 0x3f62ad3f
	v_mov_b32_e32 v29, v28
	s_mov_b32 s5, 0x3f116cb1
	v_mov_b32_e32 v49, v48
	;; [unrolled: 2-line block ×6, first 2 shown]
	v_sub_f32_e32 v22, v22, v24
	v_fmac_f32_e32 v29, 0x3f62ad3f, v27
	v_fma_f32 v28, v27, s6, -v28
	v_fmac_f32_e32 v49, 0x3f116cb1, v27
	v_fma_f32 v48, v27, s5, -v48
	;; [unrolled: 2-line block ×6, first 2 shown]
	v_add_f32_e32 v23, v23, v25
	v_mul_f32_e32 v24, 0xbf52af12, v22
	v_add_f32_e32 v29, v21, v29
	v_add_f32_e32 v28, v21, v28
	;; [unrolled: 1-line block ×12, first 2 shown]
	v_mov_b32_e32 v25, v24
	v_fma_f32 v24, v23, s5, -v24
	v_mul_f32_e32 v26, 0xbf6f5d39, v22
	v_fmac_f32_e32 v25, 0x3f116cb1, v23
	v_add_f32_e32 v24, v24, v28
	v_mov_b32_e32 v27, v26
	v_fma_f32 v26, v23, s7, -v26
	v_mul_f32_e32 v28, 0xbe750f2a, v22
	v_add_f32_e32 v25, v25, v29
	v_fmac_f32_e32 v27, 0xbeb58ec6, v23
	v_add_f32_e32 v26, v26, v48
	v_mov_b32_e32 v29, v28
	v_fma_f32 v28, v23, s11, -v28
	v_mul_f32_e32 v48, 0x3f29c268, v22
	v_add_f32_e32 v27, v27, v49
	v_add_f32_e32 v28, v28, v50
	v_mov_b32_e32 v49, v48
	v_fma_f32 v48, v23, s10, -v48
	v_mul_f32_e32 v50, 0x3f7e222b, v22
	v_mul_f32_e32 v22, 0x3eedf032, v22
	v_sub_f32_e32 v16, v18, v16
	v_fmac_f32_e32 v29, 0xbf788fa5, v23
	v_add_f32_e32 v48, v48, v52
	v_mov_b32_e32 v52, v22
	v_fma_f32 v22, v23, s6, -v22
	v_add_f32_e32 v17, v19, v17
	v_mul_f32_e32 v18, 0xbf7e222b, v16
	v_add_f32_e32 v29, v29, v51
	v_mov_b32_e32 v51, v50
	v_add_f32_e32 v21, v22, v21
	v_mov_b32_e32 v19, v18
	v_fma_f32 v18, v17, s4, -v18
	v_mul_f32_e32 v22, 0xbe750f2a, v16
	v_fmac_f32_e32 v49, 0xbf3f9e67, v23
	v_fmac_f32_e32 v51, 0x3df6dbef, v23
	v_fma_f32 v50, v23, s4, -v50
	v_fmac_f32_e32 v52, 0x3f62ad3f, v23
	v_fmac_f32_e32 v19, 0x3df6dbef, v17
	v_add_f32_e32 v18, v18, v24
	v_mov_b32_e32 v23, v22
	v_fma_f32 v22, v17, s11, -v22
	v_mul_f32_e32 v24, 0x3f6f5d39, v16
	v_add_f32_e32 v19, v19, v25
	v_fmac_f32_e32 v23, 0xbf788fa5, v17
	v_add_f32_e32 v22, v22, v26
	v_mov_b32_e32 v25, v24
	v_fma_f32 v24, v17, s7, -v24
	v_mul_f32_e32 v26, 0x3eedf032, v16
	v_sub_f32_e32 v10, v12, v10
	v_add_f32_e32 v23, v23, v27
	v_fmac_f32_e32 v25, 0xbeb58ec6, v17
	v_add_f32_e32 v24, v24, v28
	v_mov_b32_e32 v27, v26
	v_fma_f32 v26, v17, s6, -v26
	v_mul_f32_e32 v28, 0xbf52af12, v16
	v_mul_f32_e32 v16, 0xbf29c268, v16
	;; [unrolled: 1-line block ×3, first 2 shown]
	v_add_f32_e32 v25, v25, v29
	v_add_f32_e32 v26, v26, v48
	v_mov_b32_e32 v29, v28
	v_mov_b32_e32 v48, v16
	v_add_f32_e32 v11, v13, v11
	v_mov_b32_e32 v13, v12
	v_fmac_f32_e32 v27, 0x3f62ad3f, v17
	v_fmac_f32_e32 v29, 0x3f116cb1, v17
	v_fma_f32 v28, v17, s5, -v28
	v_fmac_f32_e32 v48, 0xbf3f9e67, v17
	v_fma_f32 v16, v17, s10, -v16
	;; [unrolled: 2-line block ×3, first 2 shown]
	v_mul_f32_e32 v17, 0x3f29c268, v10
	v_add_f32_e32 v13, v13, v19
	v_add_f32_e32 v12, v12, v18
	v_mov_b32_e32 v18, v17
	v_fma_f32 v17, v11, s10, -v17
	v_mul_f32_e32 v19, 0x3eedf032, v10
	v_sub_f32_e32 v6, v6, v8
	v_add_f32_e32 v16, v16, v21
	v_fmac_f32_e32 v18, 0xbf3f9e67, v11
	v_add_f32_e32 v17, v17, v22
	v_mov_b32_e32 v21, v19
	v_fma_f32 v19, v11, s6, -v19
	v_mul_f32_e32 v22, 0xbf7e222b, v10
	v_mul_f32_e32 v8, 0xbf29c268, v6
	v_add_f32_e32 v18, v18, v23
	v_fmac_f32_e32 v21, 0x3f62ad3f, v11
	v_add_f32_e32 v19, v19, v24
	v_mov_b32_e32 v23, v22
	v_fma_f32 v22, v11, s4, -v22
	v_mul_f32_e32 v24, 0x3e750f2a, v10
	v_mul_f32_e32 v10, 0x3f52af12, v10
	v_add_f32_e32 v7, v7, v9
	v_mov_b32_e32 v9, v8
	v_add_f32_e32 v21, v21, v25
	v_add_f32_e32 v22, v22, v26
	v_mov_b32_e32 v25, v24
	v_mov_b32_e32 v26, v10
	v_fmac_f32_e32 v9, 0xbf3f9e67, v7
	v_fmac_f32_e32 v23, 0x3df6dbef, v11
	;; [unrolled: 1-line block ×3, first 2 shown]
	v_fma_f32 v24, v11, s11, -v24
	v_fmac_f32_e32 v26, 0x3f116cb1, v11
	v_fma_f32 v10, v11, s5, -v10
	v_add_f32_e32 v9, v9, v13
	v_fma_f32 v8, v7, s10, -v8
	v_mul_f32_e32 v11, 0x3f7e222b, v6
	v_mul_f32_e32 v13, 0xbf52af12, v6
	v_add_f32_e32 v10, v10, v16
	v_add_f32_e32 v8, v8, v12
	v_mov_b32_e32 v12, v11
	v_fma_f32 v11, v7, s4, -v11
	v_mov_b32_e32 v16, v13
	v_fma_f32 v13, v7, s5, -v13
	v_add_f32_e32 v49, v49, v53
	v_fmac_f32_e32 v12, 0x3df6dbef, v7
	v_add_f32_e32 v11, v11, v17
	v_add_f32_e32 v17, v13, v19
	v_mul_f32_e32 v13, 0x3e750f2a, v6
	v_add_f32_e32 v50, v50, v54
	v_add_f32_e32 v27, v27, v49
	;; [unrolled: 1-line block ×3, first 2 shown]
	v_mov_b32_e32 v18, v13
	v_fma_f32 v13, v7, s11, -v13
	v_sub_f32_e32 v0, v0, v2
	v_add_f32_e32 v28, v28, v50
	v_add_f32_e32 v23, v23, v27
	v_fmac_f32_e32 v18, 0xbf788fa5, v7
	v_add_f32_e32 v22, v13, v22
	v_mul_f32_e32 v13, 0x3eedf032, v6
	v_add_f32_e32 v1, v1, v3
	v_mul_f32_e32 v2, 0xbe750f2a, v0
	v_add_f32_e32 v52, v52, v56
	v_add_f32_e32 v24, v24, v28
	;; [unrolled: 1-line block ×3, first 2 shown]
	v_mov_b32_e32 v18, v13
	v_fma_f32 v13, v7, s6, -v13
	v_mul_f32_e32 v6, 0xbf6f5d39, v6
	v_mov_b32_e32 v3, v2
	v_fma_f32 v2, v1, s11, -v2
	v_add_f32_e32 v51, v51, v55
	v_add_f32_e32 v48, v48, v52
	v_fmac_f32_e32 v16, 0x3f116cb1, v7
	v_add_f32_e32 v24, v13, v24
	v_mov_b32_e32 v13, v6
	v_fmac_f32_e32 v3, 0xbf788fa5, v1
	v_add_f32_e32 v8, v2, v8
	v_mul_f32_e32 v2, 0x3eedf032, v0
	v_add_f32_e32 v29, v29, v51
	v_add_f32_e32 v26, v26, v48
	;; [unrolled: 1-line block ×3, first 2 shown]
	v_fmac_f32_e32 v13, 0xbeb58ec6, v7
	v_add_f32_e32 v21, v3, v9
	v_mov_b32_e32 v3, v2
	v_fma_f32 v2, v1, s6, -v2
	v_add_f32_e32 v25, v25, v29
	v_fmac_f32_e32 v18, 0x3f62ad3f, v7
	v_add_f32_e32 v26, v13, v26
	v_fmac_f32_e32 v3, 0x3f62ad3f, v1
	v_add_f32_e32 v13, v2, v11
	v_mul_f32_e32 v2, 0xbf29c268, v0
	v_add_f32_e32 v25, v18, v25
	v_add_f32_e32 v18, v3, v12
	v_mov_b32_e32 v3, v2
	v_fma_f32 v2, v1, s10, -v2
	v_fmac_f32_e32 v3, 0xbf3f9e67, v1
	v_add_f32_e32 v12, v2, v17
	v_mul_f32_e32 v2, 0x3f52af12, v0
	v_add_f32_e32 v19, v3, v16
	v_mov_b32_e32 v3, v2
	v_fma_f32 v2, v1, s5, -v2
	v_fma_f32 v6, v7, s7, -v6
	v_fmac_f32_e32 v3, 0x3f116cb1, v1
	v_add_f32_e32 v7, v2, v22
	v_mul_f32_e32 v2, 0xbf6f5d39, v0
	v_add_f32_e32 v16, v3, v23
	v_mov_b32_e32 v3, v2
	v_fma_f32 v2, v1, s7, -v2
	v_mul_f32_e32 v0, 0x3f7e222b, v0
	v_add_f32_e32 v27, v6, v10
	v_add_f32_e32 v6, v2, v24
	v_mov_b32_e32 v2, v0
	v_fmac_f32_e32 v3, 0xbeb58ec6, v1
	v_fmac_f32_e32 v2, 0x3df6dbef, v1
	v_fma_f32 v0, v1, s4, -v0
	v_add_f32_e32 v17, v3, v25
	v_add_f32_e32 v10, v2, v26
	;; [unrolled: 1-line block ×3, first 2 shown]
	s_waitcnt lgkmcnt(0)
	s_barrier
	s_and_saveexec_b64 s[4:5], s[2:3]
	s_cbranch_execz .LBB0_19
; %bb.18:
	ds_write2_b32 v47, v20, v21 offset1:1
	ds_write2_b32 v47, v18, v19 offset0:2 offset1:3
	ds_write2_b32 v47, v16, v17 offset0:4 offset1:5
	ds_write2_b32 v47, v10, v11 offset0:6 offset1:7
	ds_write2_b32 v47, v6, v7 offset0:8 offset1:9
	ds_write2_b32 v47, v12, v13 offset0:10 offset1:11
	ds_write_b32 v47, v8 offset:48
.LBB0_19:
	s_or_b64 exec, exec, s[4:5]
	s_waitcnt lgkmcnt(0)
	s_barrier
	s_waitcnt lgkmcnt(0)
                                        ; implicit-def: $vgpr22
	s_and_saveexec_b64 s[2:3], s[0:1]
	s_cbranch_execz .LBB0_21
; %bb.20:
	v_add_u32_e32 v0, 0x400, v46
	ds_read2_b32 v[20:21], v46 offset1:65
	ds_read2_b32 v[18:19], v46 offset0:130 offset1:195
	ds_read2_b32 v[16:17], v0 offset0:4 offset1:69
	ds_read2_b32 v[10:11], v0 offset0:134 offset1:199
	v_add_u32_e32 v0, 0x800, v46
	ds_read2_b32 v[6:7], v0 offset0:8 offset1:73
	ds_read2_b32 v[12:13], v0 offset0:138 offset1:203
	v_add_u32_e32 v0, 0xc00, v46
	ds_read2_b32 v[8:9], v0 offset0:12 offset1:77
	ds_read2_b32 v[22:23], v0 offset0:142 offset1:207
.LBB0_21:
	s_or_b64 exec, exec, s[2:3]
	s_movk_i32 s2, 0x4f
	v_mul_lo_u16_sdwa v0, v44, s2 dst_sel:DWORD dst_unused:UNUSED_PAD src0_sel:BYTE_0 src1_sel:DWORD
	v_lshrrev_b16_e32 v24, 10, v0
	v_mul_lo_u16_e32 v0, 13, v24
	v_sub_u16_e32 v25, v44, v0
	v_mov_b32_e32 v0, 15
	v_mul_u32_u24_sdwa v0, v25, v0 dst_sel:DWORD dst_unused:UNUSED_PAD src0_sel:BYTE_0 src1_sel:DWORD
	v_lshlrev_b32_e32 v59, 3, v0
	global_load_dwordx4 v[26:29], v59, s[8:9]
	global_load_dwordx4 v[47:50], v59, s[8:9] offset:16
	global_load_dwordx4 v[51:54], v59, s[8:9] offset:32
	;; [unrolled: 1-line block ×4, first 2 shown]
	s_waitcnt vmcnt(4)
	v_mul_f32_e32 v62, v32, v29
	s_waitcnt lgkmcnt(7)
	v_mul_f32_e32 v60, v21, v27
	v_mul_f32_e32 v61, v31, v27
	s_waitcnt lgkmcnt(6)
	v_mul_f32_e32 v27, v18, v29
	v_fmac_f32_e32 v62, v18, v28
	s_waitcnt vmcnt(3)
	v_mul_f32_e32 v18, v19, v48
	v_fma_f32 v31, v31, v26, -v60
	v_fmac_f32_e32 v61, v21, v26
	v_fma_f32 v21, v32, v28, -v27
	v_mul_f32_e32 v32, v33, v48
	v_fma_f32 v33, v33, v47, -v18
	global_load_dwordx4 v[26:29], v59, s[8:9] offset:80
	v_mul_f32_e32 v18, v36, v50
	v_fmac_f32_e32 v32, v19, v47
	s_waitcnt lgkmcnt(5)
	v_mul_f32_e32 v19, v16, v50
	v_fmac_f32_e32 v18, v16, v49
	s_waitcnt vmcnt(3)
	v_mul_f32_e32 v16, v17, v52
	s_waitcnt lgkmcnt(4)
	v_mul_f32_e32 v47, v10, v54
	v_fma_f32 v19, v36, v49, -v19
	v_mul_f32_e32 v36, v37, v52
	v_mul_f32_e32 v52, v38, v54
	v_fma_f32 v37, v37, v51, -v16
	s_waitcnt vmcnt(2) lgkmcnt(3)
	v_mul_f32_e32 v16, v7, v56
	v_fma_f32 v38, v38, v53, -v47
	global_load_dwordx4 v[47:50], v59, s[8:9] offset:96
	v_mul_f32_e32 v54, v15, v56
	v_fmac_f32_e32 v52, v10, v53
	v_fma_f32 v53, v15, v55, -v16
	global_load_dwordx2 v[15:16], v59, s[8:9] offset:112
	v_fmac_f32_e32 v36, v17, v51
	s_waitcnt lgkmcnt(2)
	v_mul_f32_e32 v17, v12, v58
	v_mul_f32_e32 v51, v34, v58
	v_fmac_f32_e32 v54, v7, v55
	v_fma_f32 v7, v34, v57, -v17
	v_fmac_f32_e32 v51, v12, v57
	s_waitcnt vmcnt(3)
	v_mul_f32_e32 v10, v11, v1
	v_mul_f32_e32 v1, v39, v1
	v_fmac_f32_e32 v1, v11, v0
	v_sub_f32_e32 v7, v21, v7
	s_waitcnt vmcnt(0) lgkmcnt(0)
	s_barrier
	v_mul_f32_e32 v17, v35, v27
	v_mul_f32_e32 v12, v13, v27
	;; [unrolled: 1-line block ×3, first 2 shown]
	v_fmac_f32_e32 v17, v13, v26
	v_mul_f32_e32 v13, v40, v29
	v_fma_f32 v27, v40, v28, -v27
	v_fmac_f32_e32 v13, v8, v28
	v_fma_f32 v12, v35, v26, -v12
	v_fma_f32 v35, v39, v0, -v10
	v_sub_f32_e32 v11, v18, v13
	v_sub_f32_e32 v10, v19, v27
	;; [unrolled: 1-line block ×4, first 2 shown]
	v_mul_f32_e32 v8, v41, v48
	v_mul_f32_e32 v28, v22, v50
	;; [unrolled: 1-line block ×5, first 2 shown]
	v_fmac_f32_e32 v8, v9, v47
	v_fma_f32 v9, v42, v49, -v28
	v_mul_f32_e32 v16, v43, v16
	v_fmac_f32_e32 v29, v22, v49
	v_fma_f32 v22, v43, v15, -v34
	v_sub_f32_e32 v9, v38, v9
	v_fma_f32 v0, v41, v47, -v26
	v_fmac_f32_e32 v16, v23, v15
	v_sub_f32_e32 v23, v52, v29
	v_sub_f32_e32 v29, v33, v12
	v_fma_f32 v13, v38, 2.0, -v9
	v_sub_f32_e32 v38, v35, v22
	v_sub_f32_e32 v15, v62, v51
	;; [unrolled: 1-line block ×5, first 2 shown]
	v_fma_f32 v33, v33, 2.0, -v29
	v_fma_f32 v35, v35, 2.0, -v38
	v_fma_f32 v0, v21, 2.0, -v7
	v_fma_f32 v12, v62, 2.0, -v15
	v_fma_f32 v21, v52, 2.0, -v23
	v_fma_f32 v31, v31, 2.0, -v26
	v_fma_f32 v34, v61, 2.0, -v27
	v_fma_f32 v37, v37, 2.0, -v28
	v_fma_f32 v36, v36, 2.0, -v8
	v_sub_f32_e32 v39, v1, v16
	v_add_f32_e32 v9, v15, v9
	v_sub_f32_e32 v8, v26, v8
	v_sub_f32_e32 v35, v33, v35
	;; [unrolled: 1-line block ×4, first 2 shown]
	v_fma_f32 v15, v15, 2.0, -v9
	v_sub_f32_e32 v23, v31, v37
	v_sub_f32_e32 v37, v34, v36
	v_add_f32_e32 v41, v27, v28
	v_fma_f32 v26, v26, 2.0, -v8
	v_fma_f32 v28, v33, 2.0, -v35
	v_sub_f32_e32 v33, v29, v39
	v_fma_f32 v32, v32, 2.0, -v17
	v_fma_f32 v40, v1, 2.0, -v39
	;; [unrolled: 1-line block ×3, first 2 shown]
	v_add_f32_e32 v38, v17, v38
	v_fma_f32 v39, v29, 2.0, -v33
	v_mul_f32_e32 v34, 0x3f3504f3, v15
	v_mov_b32_e32 v15, v26
	v_fma_f32 v7, v7, 2.0, -v21
	v_sub_f32_e32 v40, v32, v40
	v_fma_f32 v42, v17, 2.0, -v38
	v_fmac_f32_e32 v15, 0xbf3504f3, v39
	v_fma_f32 v1, v31, 2.0, -v23
	v_fma_f32 v36, v27, 2.0, -v41
	v_fma_f32 v32, v32, 2.0, -v40
	v_mul_f32_e32 v31, 0x3f3504f3, v7
	v_fmac_f32_e32 v15, 0xbf3504f3, v42
	v_sub_f32_e32 v7, v23, v40
	v_mul_f32_e32 v27, 0x3f3504f3, v21
	v_mul_f32_e32 v29, 0x3f3504f3, v9
	v_sub_f32_e32 v17, v1, v28
	v_sub_f32_e32 v28, v16, v32
	v_mov_b32_e32 v21, v36
	v_fma_f32 v32, v26, 2.0, -v15
	v_add_f32_e32 v9, v37, v35
	v_fma_f32 v35, v23, 2.0, -v7
	v_mov_b32_e32 v23, v8
	v_mov_b32_e32 v26, v41
	v_fmac_f32_e32 v21, 0xbf3504f3, v42
	v_fmac_f32_e32 v23, 0x3f3504f3, v33
	v_fmac_f32_e32 v26, 0x3f3504f3, v38
	v_fmac_f32_e32 v21, 0x3f3504f3, v39
	v_fma_f32 v40, v37, 2.0, -v9
	v_fmac_f32_e32 v23, 0xbf3504f3, v38
	v_fmac_f32_e32 v26, 0x3f3504f3, v33
	v_sub_f32_e32 v13, v0, v13
	v_fma_f32 v36, v36, 2.0, -v21
	v_fma_f32 v37, v8, 2.0, -v23
	;; [unrolled: 1-line block ×3, first 2 shown]
	v_mul_f32_e32 v39, 0x3f3504f3, v35
	v_mul_f32_e32 v40, 0x3f3504f3, v40
	;; [unrolled: 1-line block ×4, first 2 shown]
	s_and_saveexec_b64 s[2:3], s[0:1]
	s_cbranch_execz .LBB0_23
; %bb.22:
	v_mul_f32_e32 v7, v6, v3
	v_fma_f32 v7, v14, v2, -v7
	v_sub_f32_e32 v7, v30, v7
	v_sub_f32_e32 v8, v7, v11
	v_fma_f32 v30, v30, 2.0, -v7
	v_fma_f32 v7, v7, 2.0, -v8
	v_sub_f32_e32 v49, v7, v31
	v_add_f32_e32 v9, v8, v27
	v_fma_f32 v19, v19, 2.0, -v10
	v_sub_f32_e32 v49, v49, v34
	v_sub_f32_e32 v9, v9, v29
	v_sub_f32_e32 v19, v30, v19
	v_mov_b32_e32 v50, v49
	v_mov_b32_e32 v41, v9
	v_fmac_f32_e32 v50, 0x3ec3ef15, v15
	v_fma_f32 v30, v30, 2.0, -v19
	v_fma_f32 v0, v0, 2.0, -v13
	v_fmac_f32_e32 v41, 0x3f6c835e, v23
	v_sub_f32_e32 v43, v19, v22
	v_fmac_f32_e32 v50, 0xbf6c835e, v21
	v_sub_f32_e32 v0, v30, v0
	v_fma_f32 v7, v7, 2.0, -v49
	v_fmac_f32_e32 v41, 0xbec3ef15, v26
	v_add_f32_e32 v47, v43, v33
	v_fma_f32 v51, v49, 2.0, -v50
	v_sub_f32_e32 v52, v0, v28
	v_fma_f32 v8, v8, 2.0, -v9
	v_mov_b32_e32 v49, v7
	v_fma_f32 v42, v9, 2.0, -v41
	v_sub_f32_e32 v47, v47, v35
	v_fma_f32 v53, v0, 2.0, -v52
	v_mov_b32_e32 v9, v8
	v_fma_f32 v19, v19, 2.0, -v43
	v_fmac_f32_e32 v49, 0xbf6c835e, v32
	v_fma_f32 v0, v30, 2.0, -v0
	v_fma_f32 v1, v1, 2.0, -v17
	v_mul_u32_u24_e32 v30, 0xd0, v24
	v_fma_f32 v48, v43, 2.0, -v47
	v_fmac_f32_e32 v9, 0xbec3ef15, v37
	v_sub_f32_e32 v43, v19, v39
	v_fmac_f32_e32 v49, 0xbec3ef15, v36
	v_sub_f32_e32 v1, v0, v1
	v_or_b32_sdwa v30, v30, v25 dst_sel:DWORD dst_unused:UNUSED_PAD src0_sel:DWORD src1_sel:BYTE_0
	v_fmac_f32_e32 v9, 0xbf6c835e, v38
	v_sub_f32_e32 v43, v43, v40
	v_fma_f32 v7, v7, 2.0, -v49
	v_fma_f32 v0, v0, 2.0, -v1
	v_lshl_add_u32 v30, v30, 2, 0
	v_fma_f32 v8, v8, 2.0, -v9
	v_fma_f32 v19, v19, 2.0, -v43
	ds_write2_b32 v30, v0, v7 offset1:13
	ds_write2_b32 v30, v19, v8 offset0:26 offset1:39
	ds_write2_b32 v30, v53, v51 offset0:52 offset1:65
	;; [unrolled: 1-line block ×7, first 2 shown]
.LBB0_23:
	s_or_b64 exec, exec, s[2:3]
	v_add_u32_e32 v7, 0x600, v46
	s_waitcnt lgkmcnt(0)
	s_barrier
	ds_read2_b32 v[0:1], v46 offset1:208
	ds_read2_b32 v[7:8], v7 offset0:32 offset1:240
	ds_read_b32 v9, v46 offset:3328
	s_waitcnt lgkmcnt(0)
	s_barrier
	s_and_saveexec_b64 s[2:3], s[0:1]
	s_cbranch_execz .LBB0_25
; %bb.24:
	v_mul_f32_e32 v3, v14, v3
	v_fmac_f32_e32 v3, v6, v2
	v_sub_f32_e32 v2, v20, v3
	v_add_f32_e32 v10, v2, v10
	v_fma_f32 v3, v20, 2.0, -v2
	v_fma_f32 v2, v2, 2.0, -v10
	;; [unrolled: 1-line block ×4, first 2 shown]
	v_sub_f32_e32 v12, v2, v34
	v_add_f32_e32 v12, v31, v12
	v_add_f32_e32 v14, v10, v29
	v_sub_f32_e32 v6, v3, v6
	v_add_f32_e32 v14, v27, v14
	v_mov_b32_e32 v22, v12
	v_fma_f32 v3, v3, 2.0, -v6
	v_fma_f32 v2, v2, 2.0, -v12
	v_fmac_f32_e32 v22, 0x3ec3ef15, v21
	v_mov_b32_e32 v21, v14
	v_sub_f32_e32 v11, v3, v11
	v_add_f32_e32 v13, v6, v13
	v_fma_f32 v10, v10, 2.0, -v14
	v_mov_b32_e32 v18, v2
	v_fmac_f32_e32 v21, 0x3f6c835e, v26
	v_fma_f32 v3, v3, 2.0, -v11
	v_fma_f32 v6, v6, 2.0, -v13
	v_fma_f32 v16, v16, 2.0, -v28
	v_fmac_f32_e32 v18, 0xbf6c835e, v36
	v_mov_b32_e32 v20, v10
	v_fmac_f32_e32 v21, 0x3ec3ef15, v23
	v_mul_u32_u24_e32 v23, 0xd0, v24
	v_sub_f32_e32 v16, v3, v16
	v_fmac_f32_e32 v18, 0x3ec3ef15, v32
	v_sub_f32_e32 v19, v6, v40
	v_fmac_f32_e32 v20, 0xbec3ef15, v38
	v_fmac_f32_e32 v22, 0x3f6c835e, v15
	v_add_f32_e32 v15, v13, v35
	v_or_b32_sdwa v23, v23, v25 dst_sel:DWORD dst_unused:UNUSED_PAD src0_sel:DWORD src1_sel:BYTE_0
	v_fma_f32 v3, v3, 2.0, -v16
	v_fma_f32 v2, v2, 2.0, -v18
	v_add_f32_e32 v19, v39, v19
	v_fmac_f32_e32 v20, 0x3f6c835e, v37
	v_add_f32_e32 v17, v11, v17
	v_add_f32_e32 v15, v33, v15
	v_lshl_add_u32 v23, v23, 2, 0
	v_fma_f32 v6, v6, 2.0, -v19
	v_fma_f32 v10, v10, 2.0, -v20
	;; [unrolled: 1-line block ×6, first 2 shown]
	ds_write2_b32 v23, v3, v2 offset1:13
	ds_write2_b32 v23, v6, v10 offset0:26 offset1:39
	ds_write2_b32 v23, v11, v12 offset0:52 offset1:65
	;; [unrolled: 1-line block ×7, first 2 shown]
.LBB0_25:
	s_or_b64 exec, exec, s[2:3]
	s_waitcnt lgkmcnt(0)
	s_barrier
	s_and_saveexec_b64 s[0:1], vcc
	s_cbranch_execz .LBB0_27
; %bb.26:
	v_lshlrev_b32_e32 v2, 2, v44
	v_mov_b32_e32 v3, 0
	v_lshlrev_b64 v[2:3], 3, v[2:3]
	v_mov_b32_e32 v6, s9
	v_add_co_u32_e32 v2, vcc, s8, v2
	v_addc_co_u32_e32 v3, vcc, v6, v3, vcc
	global_load_dwordx4 v[10:13], v[2:3], off offset:1560
	global_load_dwordx4 v[14:17], v[2:3], off offset:1576
	v_mad_u64_u32 v[18:19], s[0:1], s12, v45, 0
	ds_read2_b32 v[2:3], v46 offset1:208
	v_add_u32_e32 v6, 0x600, v46
	ds_read_b32 v24, v46 offset:3328
	ds_read2_b32 v[20:21], v6 offset0:32 offset1:240
	v_mov_b32_e32 v6, v19
	v_mad_u64_u32 v[22:23], s[0:1], s13, v45, v[6:7]
	v_lshlrev_b64 v[4:5], 3, v[4:5]
	s_waitcnt vmcnt(1)
	v_mul_f32_e32 v6, v1, v11
	s_waitcnt vmcnt(0)
	v_mul_f32_e32 v23, v9, v17
	v_mul_f32_e32 v19, v7, v13
	;; [unrolled: 1-line block ×3, first 2 shown]
	s_waitcnt lgkmcnt(0)
	v_mul_f32_e32 v13, v20, v13
	v_mul_f32_e32 v15, v21, v15
	;; [unrolled: 1-line block ×4, first 2 shown]
	v_fmac_f32_e32 v6, v3, v10
	v_fmac_f32_e32 v23, v24, v16
	;; [unrolled: 1-line block ×4, first 2 shown]
	v_fma_f32 v12, v7, v12, -v13
	v_fma_f32 v13, v8, v14, -v15
	;; [unrolled: 1-line block ×4, first 2 shown]
	v_add_f32_e32 v26, v6, v23
	v_sub_f32_e32 v3, v6, v19
	v_sub_f32_e32 v7, v23, v25
	v_sub_f32_e32 v15, v1, v10
	v_add_f32_e32 v8, v19, v25
	v_sub_f32_e32 v9, v1, v12
	v_sub_f32_e32 v11, v10, v13
	;; [unrolled: 1-line block ×3, first 2 shown]
	v_add_f32_e32 v29, v1, v10
	v_add_f32_e32 v31, v0, v1
	v_fma_f32 v1, -0.5, v26, v2
	v_sub_f32_e32 v14, v12, v13
	v_add_f32_e32 v16, v12, v13
	v_add_f32_e32 v32, v3, v7
	v_fma_f32 v7, -0.5, v8, v2
	v_add_f32_e32 v33, v9, v11
	v_mov_b32_e32 v9, v1
	v_sub_f32_e32 v17, v6, v23
	v_sub_f32_e32 v21, v19, v6
	;; [unrolled: 1-line block ×3, first 2 shown]
	v_add_f32_e32 v30, v6, v2
	v_fma_f32 v6, -0.5, v16, v0
	v_fma_f32 v0, -0.5, v29, v0
	v_mov_b32_e32 v3, v7
	v_fmac_f32_e32 v1, 0x3f737871, v14
	v_fmac_f32_e32 v9, 0xbf737871, v14
	v_add_f32_e32 v12, v31, v12
	v_sub_f32_e32 v20, v19, v25
	v_add_f32_e32 v16, v21, v24
	v_mov_b32_e32 v8, v0
	v_fmac_f32_e32 v7, 0xbf737871, v15
	v_fmac_f32_e32 v3, 0x3f737871, v15
	;; [unrolled: 1-line block ×4, first 2 shown]
	v_add_f32_e32 v12, v12, v13
	v_sub_f32_e32 v28, v13, v10
	v_mov_b32_e32 v2, v6
	v_fmac_f32_e32 v0, 0xbf737871, v20
	v_fmac_f32_e32 v8, 0x3f737871, v20
	;; [unrolled: 1-line block ×6, first 2 shown]
	v_add_f32_e32 v10, v10, v12
	v_mov_b32_e32 v12, s15
	v_add_co_u32_e32 v16, vcc, s14, v4
	v_add_u32_e32 v14, 0xd0, v45
	v_fmac_f32_e32 v6, 0x3f737871, v17
	v_fmac_f32_e32 v2, 0xbf737871, v17
	;; [unrolled: 1-line block ×4, first 2 shown]
	v_addc_co_u32_e32 v17, vcc, v12, v5, vcc
	v_mad_u64_u32 v[12:13], s[0:1], s12, v14, 0
	v_add_f32_e32 v11, v19, v30
	v_mov_b32_e32 v19, v22
	v_lshlrev_b64 v[4:5], 3, v[18:19]
	v_mad_u64_u32 v[13:14], s[0:1], s13, v14, v[13:14]
	v_add_u32_e32 v18, 0x1a0, v45
	v_mad_u64_u32 v[14:15], s[0:1], s12, v18, 0
	v_add_f32_e32 v11, v25, v11
	v_add_co_u32_e32 v4, vcc, v16, v4
	v_add_f32_e32 v11, v23, v11
	v_addc_co_u32_e32 v5, vcc, v17, v5, vcc
	global_store_dwordx2 v[4:5], v[10:11], off
	v_mov_b32_e32 v10, v15
	v_mad_u64_u32 v[10:11], s[0:1], s13, v18, v[10:11]
	v_lshlrev_b64 v[4:5], 3, v[12:13]
	v_fmac_f32_e32 v6, 0x3f167918, v20
	v_add_co_u32_e32 v4, vcc, v16, v4
	v_fmac_f32_e32 v7, 0x3e9e377a, v32
	v_fmac_f32_e32 v6, 0x3e9e377a, v33
	v_addc_co_u32_e32 v5, vcc, v17, v5, vcc
	v_mov_b32_e32 v15, v10
	v_add_u32_e32 v10, 0x270, v45
	global_store_dwordx2 v[4:5], v[6:7], off
	v_mad_u64_u32 v[6:7], s[0:1], s12, v10, 0
	v_add_f32_e32 v21, v27, v28
	v_fmac_f32_e32 v8, 0x3e9e377a, v21
	v_mad_u64_u32 v[10:11], s[0:1], s13, v10, v[7:8]
	v_add_u32_e32 v13, 0x340, v45
	v_lshlrev_b64 v[4:5], 3, v[14:15]
	v_mad_u64_u32 v[11:12], s[0:1], s12, v13, 0
	v_add_co_u32_e32 v4, vcc, v16, v4
	v_fmac_f32_e32 v0, 0x3e9e377a, v21
	v_addc_co_u32_e32 v5, vcc, v17, v5, vcc
	global_store_dwordx2 v[4:5], v[0:1], off
	v_mov_b32_e32 v4, v12
	v_mov_b32_e32 v7, v10
	v_mad_u64_u32 v[4:5], s[0:1], s13, v13, v[4:5]
	v_lshlrev_b64 v[0:1], 3, v[6:7]
	v_fmac_f32_e32 v2, 0xbf167918, v20
	v_add_co_u32_e32 v0, vcc, v16, v0
	v_addc_co_u32_e32 v1, vcc, v17, v1, vcc
	v_mov_b32_e32 v12, v4
	global_store_dwordx2 v[0:1], v[8:9], off
	v_lshlrev_b64 v[0:1], 3, v[11:12]
	v_fmac_f32_e32 v3, 0x3e9e377a, v32
	v_add_co_u32_e32 v0, vcc, v16, v0
	v_fmac_f32_e32 v2, 0x3e9e377a, v33
	v_addc_co_u32_e32 v1, vcc, v17, v1, vcc
	global_store_dwordx2 v[0:1], v[2:3], off
.LBB0_27:
	s_endpgm
	.section	.rodata,"a",@progbits
	.p2align	6, 0x0
	.amdhsa_kernel fft_rtc_fwd_len1040_factors_13_16_5_wgs_208_tpt_208_halfLds_sp_ip_CI_sbrr_dirReg
		.amdhsa_group_segment_fixed_size 0
		.amdhsa_private_segment_fixed_size 0
		.amdhsa_kernarg_size 88
		.amdhsa_user_sgpr_count 6
		.amdhsa_user_sgpr_private_segment_buffer 1
		.amdhsa_user_sgpr_dispatch_ptr 0
		.amdhsa_user_sgpr_queue_ptr 0
		.amdhsa_user_sgpr_kernarg_segment_ptr 1
		.amdhsa_user_sgpr_dispatch_id 0
		.amdhsa_user_sgpr_flat_scratch_init 0
		.amdhsa_user_sgpr_private_segment_size 0
		.amdhsa_uses_dynamic_stack 0
		.amdhsa_system_sgpr_private_segment_wavefront_offset 0
		.amdhsa_system_sgpr_workgroup_id_x 1
		.amdhsa_system_sgpr_workgroup_id_y 0
		.amdhsa_system_sgpr_workgroup_id_z 0
		.amdhsa_system_sgpr_workgroup_info 0
		.amdhsa_system_vgpr_workitem_id 0
		.amdhsa_next_free_vgpr 63
		.amdhsa_next_free_sgpr 24
		.amdhsa_reserve_vcc 1
		.amdhsa_reserve_flat_scratch 0
		.amdhsa_float_round_mode_32 0
		.amdhsa_float_round_mode_16_64 0
		.amdhsa_float_denorm_mode_32 3
		.amdhsa_float_denorm_mode_16_64 3
		.amdhsa_dx10_clamp 1
		.amdhsa_ieee_mode 1
		.amdhsa_fp16_overflow 0
		.amdhsa_exception_fp_ieee_invalid_op 0
		.amdhsa_exception_fp_denorm_src 0
		.amdhsa_exception_fp_ieee_div_zero 0
		.amdhsa_exception_fp_ieee_overflow 0
		.amdhsa_exception_fp_ieee_underflow 0
		.amdhsa_exception_fp_ieee_inexact 0
		.amdhsa_exception_int_div_zero 0
	.end_amdhsa_kernel
	.text
.Lfunc_end0:
	.size	fft_rtc_fwd_len1040_factors_13_16_5_wgs_208_tpt_208_halfLds_sp_ip_CI_sbrr_dirReg, .Lfunc_end0-fft_rtc_fwd_len1040_factors_13_16_5_wgs_208_tpt_208_halfLds_sp_ip_CI_sbrr_dirReg
                                        ; -- End function
	.section	.AMDGPU.csdata,"",@progbits
; Kernel info:
; codeLenInByte = 7840
; NumSgprs: 28
; NumVgprs: 63
; ScratchSize: 0
; MemoryBound: 0
; FloatMode: 240
; IeeeMode: 1
; LDSByteSize: 0 bytes/workgroup (compile time only)
; SGPRBlocks: 3
; VGPRBlocks: 15
; NumSGPRsForWavesPerEU: 28
; NumVGPRsForWavesPerEU: 63
; Occupancy: 4
; WaveLimiterHint : 1
; COMPUTE_PGM_RSRC2:SCRATCH_EN: 0
; COMPUTE_PGM_RSRC2:USER_SGPR: 6
; COMPUTE_PGM_RSRC2:TRAP_HANDLER: 0
; COMPUTE_PGM_RSRC2:TGID_X_EN: 1
; COMPUTE_PGM_RSRC2:TGID_Y_EN: 0
; COMPUTE_PGM_RSRC2:TGID_Z_EN: 0
; COMPUTE_PGM_RSRC2:TIDIG_COMP_CNT: 0
	.type	__hip_cuid_b7557b414e66028f,@object ; @__hip_cuid_b7557b414e66028f
	.section	.bss,"aw",@nobits
	.globl	__hip_cuid_b7557b414e66028f
__hip_cuid_b7557b414e66028f:
	.byte	0                               ; 0x0
	.size	__hip_cuid_b7557b414e66028f, 1

	.ident	"AMD clang version 19.0.0git (https://github.com/RadeonOpenCompute/llvm-project roc-6.4.0 25133 c7fe45cf4b819c5991fe208aaa96edf142730f1d)"
	.section	".note.GNU-stack","",@progbits
	.addrsig
	.addrsig_sym __hip_cuid_b7557b414e66028f
	.amdgpu_metadata
---
amdhsa.kernels:
  - .args:
      - .actual_access:  read_only
        .address_space:  global
        .offset:         0
        .size:           8
        .value_kind:     global_buffer
      - .offset:         8
        .size:           8
        .value_kind:     by_value
      - .actual_access:  read_only
        .address_space:  global
        .offset:         16
        .size:           8
        .value_kind:     global_buffer
      - .actual_access:  read_only
        .address_space:  global
        .offset:         24
        .size:           8
        .value_kind:     global_buffer
      - .offset:         32
        .size:           8
        .value_kind:     by_value
      - .actual_access:  read_only
        .address_space:  global
        .offset:         40
        .size:           8
        .value_kind:     global_buffer
      - .actual_access:  read_only
        .address_space:  global
        .offset:         48
        .size:           8
        .value_kind:     global_buffer
      - .offset:         56
        .size:           4
        .value_kind:     by_value
      - .actual_access:  read_only
        .address_space:  global
        .offset:         64
        .size:           8
        .value_kind:     global_buffer
      - .actual_access:  read_only
        .address_space:  global
        .offset:         72
        .size:           8
        .value_kind:     global_buffer
      - .address_space:  global
        .offset:         80
        .size:           8
        .value_kind:     global_buffer
    .group_segment_fixed_size: 0
    .kernarg_segment_align: 8
    .kernarg_segment_size: 88
    .language:       OpenCL C
    .language_version:
      - 2
      - 0
    .max_flat_workgroup_size: 208
    .name:           fft_rtc_fwd_len1040_factors_13_16_5_wgs_208_tpt_208_halfLds_sp_ip_CI_sbrr_dirReg
    .private_segment_fixed_size: 0
    .sgpr_count:     28
    .sgpr_spill_count: 0
    .symbol:         fft_rtc_fwd_len1040_factors_13_16_5_wgs_208_tpt_208_halfLds_sp_ip_CI_sbrr_dirReg.kd
    .uniform_work_group_size: 1
    .uses_dynamic_stack: false
    .vgpr_count:     63
    .vgpr_spill_count: 0
    .wavefront_size: 64
amdhsa.target:   amdgcn-amd-amdhsa--gfx906
amdhsa.version:
  - 1
  - 2
...

	.end_amdgpu_metadata
